;; amdgpu-corpus repo=zjin-lcf/HeCBench kind=compiled arch=gfx1030 opt=O3
	.amdgcn_target "amdgcn-amd-amdhsa--gfx1030"
	.amdhsa_code_object_version 6
	.text
	.protected	_Z16bitonicSortLocalPjS_PKjS1_jj ; -- Begin function _Z16bitonicSortLocalPjS_PKjS1_jj
	.globl	_Z16bitonicSortLocalPjS_PKjS1_jj
	.p2align	8
	.type	_Z16bitonicSortLocalPjS_PKjS1_jj,@function
_Z16bitonicSortLocalPjS_PKjS1_jj:       ; @_Z16bitonicSortLocalPjS_PKjS1_jj
; %bb.0:
	s_load_dwordx8 s[8:15], s[4:5], 0x0
	v_mov_b32_e32 v2, 0
	v_lshl_add_u32 v1, s6, 9, v0
	s_load_dwordx2 s[0:1], s[4:5], 0x20
	s_mov_b32 s2, 2
	v_lshlrev_b64 v[1:2], 2, v[1:2]
	s_waitcnt lgkmcnt(0)
	v_add_co_u32 v3, vcc_lo, s12, v1
	v_add_co_ci_u32_e64 v4, null, s13, v2, vcc_lo
	v_add_co_u32 v5, vcc_lo, s14, v1
	v_add_co_ci_u32_e64 v6, null, s15, v2, vcc_lo
	s_clause 0x1
	global_load_dword v7, v[3:4], off
	global_load_dword v4, v[3:4], off offset:1024
	s_clause 0x1
	global_load_dword v8, v[5:6], off
	global_load_dword v5, v[5:6], off offset:1024
	v_lshlrev_b32_e32 v3, 2, v0
	s_cmp_lt_u32 s0, 3
	s_waitcnt vmcnt(2)
	ds_write2st64_b32 v3, v7, v4 offset1:4
	s_waitcnt vmcnt(0)
	ds_write2st64_b32 v3, v8, v5 offset0:8 offset1:12
	s_cbranch_scc1 .LBB0_8
; %bb.1:
	v_lshlrev_b32_e32 v4, 1, v0
	s_branch .LBB0_3
.LBB0_2:                                ;   in Loop: Header=BB0_3 Depth=1
	s_inst_prefetch 0x2
	s_lshl_b32 s2, s2, 1
	s_cmp_ge_u32 s2, s0
	s_cbranch_scc1 .LBB0_8
.LBB0_3:                                ; =>This Loop Header: Depth=1
                                        ;     Child Loop BB0_6 Depth 2
	s_cmp_eq_u32 s2, 0
	s_cbranch_scc1 .LBB0_2
; %bb.4:                                ;   in Loop: Header=BB0_3 Depth=1
	s_lshr_b32 s3, s2, 1
	v_and_b32_e32 v5, s3, v0
	v_cmp_ne_u32_e32 vcc_lo, 0, v5
	v_cndmask_b32_e64 v5, 0, 1, vcc_lo
	v_xor_b32_e32 v5, s1, v5
	s_inst_prefetch 0x1
	s_branch .LBB0_6
	.p2align	6
.LBB0_5:                                ;   in Loop: Header=BB0_6 Depth=2
	s_or_b32 exec_lo, exec_lo, s4
	s_lshr_b32 s4, s3, 1
	s_cmp_lt_u32 s3, 2
	s_mov_b32 s3, s4
	s_cbranch_scc1 .LBB0_2
.LBB0_6:                                ;   Parent Loop BB0_3 Depth=1
                                        ; =>  This Inner Loop Header: Depth=2
	s_add_i32 s4, s3, -1
	s_waitcnt lgkmcnt(0)
	v_and_b32_e32 v6, s4, v0
	s_barrier
	buffer_gl0_inv
	s_mov_b32 s4, exec_lo
	v_sub_nc_u32_e32 v9, v4, v6
	v_lshlrev_b32_e32 v6, 2, v9
	v_lshl_add_u32 v7, s3, 2, v6
	ds_read_b32 v8, v6
	ds_read_b32 v10, v7
	s_waitcnt lgkmcnt(0)
	v_cmp_gt_u32_e32 vcc_lo, v8, v10
	v_cndmask_b32_e64 v11, 0, 1, vcc_lo
	v_cmpx_eq_u32_e64 v5, v11
	s_cbranch_execz .LBB0_5
; %bb.7:                                ;   in Loop: Header=BB0_6 Depth=2
	v_add_lshl_u32 v9, v9, s3, 2
	ds_read_b32 v11, v9 offset:2048
	ds_read_b32 v12, v6 offset:2048
	ds_write_b32 v6, v10
	ds_write_b32 v7, v8
	s_waitcnt lgkmcnt(3)
	ds_write_b32 v6, v11 offset:2048
	s_waitcnt lgkmcnt(3)
	ds_write_b32 v9, v12 offset:2048
	s_branch .LBB0_5
.LBB0_8:
	v_add_nc_u32_e32 v4, 0x800, v3
	s_cmp_lt_u32 s0, 2
	s_cbranch_scc1 .LBB0_13
; %bb.9:
	v_lshlrev_b32_e32 v5, 1, v0
	s_inst_prefetch 0x1
	s_branch .LBB0_11
	.p2align	6
.LBB0_10:                               ;   in Loop: Header=BB0_11 Depth=1
	s_or_b32 exec_lo, exec_lo, s3
	s_cmp_lt_u32 s0, 4
	s_mov_b32 s0, s2
	s_cbranch_scc1 .LBB0_13
.LBB0_11:                               ; =>This Inner Loop Header: Depth=1
	s_lshr_b32 s2, s0, 1
	s_waitcnt lgkmcnt(0)
	s_add_i32 s3, s2, -1
	s_barrier
	v_and_b32_e32 v6, s3, v0
	buffer_gl0_inv
	s_mov_b32 s3, exec_lo
	v_sub_nc_u32_e32 v9, v5, v6
	v_lshlrev_b32_e32 v6, 2, v9
	v_lshl_add_u32 v7, s2, 2, v6
	ds_read_b32 v8, v6
	ds_read_b32 v10, v7
	s_waitcnt lgkmcnt(0)
	v_cmp_gt_u32_e32 vcc_lo, v8, v10
	v_cndmask_b32_e64 v11, 0, 1, vcc_lo
	v_cmpx_eq_u32_e64 s1, v11
	s_cbranch_execz .LBB0_10
; %bb.12:                               ;   in Loop: Header=BB0_11 Depth=1
	v_add_lshl_u32 v9, v9, s2, 2
	ds_read_b32 v11, v9 offset:2048
	ds_read_b32 v12, v6 offset:2048
	ds_write_b32 v6, v10
	ds_write_b32 v7, v8
	s_waitcnt lgkmcnt(3)
	ds_write_b32 v6, v11 offset:2048
	s_waitcnt lgkmcnt(3)
	ds_write_b32 v9, v12 offset:2048
	s_branch .LBB0_10
.LBB0_13:
	s_inst_prefetch 0x2
	s_waitcnt lgkmcnt(0)
	s_barrier
	buffer_gl0_inv
	ds_read2st64_b32 v[5:6], v3 offset1:4
	ds_read2st64_b32 v[3:4], v4 offset1:4
	v_add_co_u32 v7, vcc_lo, s8, v1
	v_add_co_ci_u32_e64 v8, null, s9, v2, vcc_lo
	v_add_co_u32 v0, vcc_lo, s10, v1
	v_add_co_ci_u32_e64 v1, null, s11, v2, vcc_lo
	s_waitcnt lgkmcnt(1)
	global_store_dword v[7:8], v5, off
	s_waitcnt lgkmcnt(0)
	global_store_dword v[0:1], v3, off
	global_store_dword v[7:8], v6, off offset:1024
	global_store_dword v[0:1], v4, off offset:1024
	s_endpgm
	.section	.rodata,"a",@progbits
	.p2align	6, 0x0
	.amdhsa_kernel _Z16bitonicSortLocalPjS_PKjS1_jj
		.amdhsa_group_segment_fixed_size 4096
		.amdhsa_private_segment_fixed_size 0
		.amdhsa_kernarg_size 40
		.amdhsa_user_sgpr_count 6
		.amdhsa_user_sgpr_private_segment_buffer 1
		.amdhsa_user_sgpr_dispatch_ptr 0
		.amdhsa_user_sgpr_queue_ptr 0
		.amdhsa_user_sgpr_kernarg_segment_ptr 1
		.amdhsa_user_sgpr_dispatch_id 0
		.amdhsa_user_sgpr_flat_scratch_init 0
		.amdhsa_user_sgpr_private_segment_size 0
		.amdhsa_wavefront_size32 1
		.amdhsa_uses_dynamic_stack 0
		.amdhsa_system_sgpr_private_segment_wavefront_offset 0
		.amdhsa_system_sgpr_workgroup_id_x 1
		.amdhsa_system_sgpr_workgroup_id_y 0
		.amdhsa_system_sgpr_workgroup_id_z 0
		.amdhsa_system_sgpr_workgroup_info 0
		.amdhsa_system_vgpr_workitem_id 0
		.amdhsa_next_free_vgpr 13
		.amdhsa_next_free_sgpr 16
		.amdhsa_reserve_vcc 1
		.amdhsa_reserve_flat_scratch 0
		.amdhsa_float_round_mode_32 0
		.amdhsa_float_round_mode_16_64 0
		.amdhsa_float_denorm_mode_32 3
		.amdhsa_float_denorm_mode_16_64 3
		.amdhsa_dx10_clamp 1
		.amdhsa_ieee_mode 1
		.amdhsa_fp16_overflow 0
		.amdhsa_workgroup_processor_mode 1
		.amdhsa_memory_ordered 1
		.amdhsa_forward_progress 1
		.amdhsa_shared_vgpr_count 0
		.amdhsa_exception_fp_ieee_invalid_op 0
		.amdhsa_exception_fp_denorm_src 0
		.amdhsa_exception_fp_ieee_div_zero 0
		.amdhsa_exception_fp_ieee_overflow 0
		.amdhsa_exception_fp_ieee_underflow 0
		.amdhsa_exception_fp_ieee_inexact 0
		.amdhsa_exception_int_div_zero 0
	.end_amdhsa_kernel
	.text
.Lfunc_end0:
	.size	_Z16bitonicSortLocalPjS_PKjS1_jj, .Lfunc_end0-_Z16bitonicSortLocalPjS_PKjS1_jj
                                        ; -- End function
	.set _Z16bitonicSortLocalPjS_PKjS1_jj.num_vgpr, 13
	.set _Z16bitonicSortLocalPjS_PKjS1_jj.num_agpr, 0
	.set _Z16bitonicSortLocalPjS_PKjS1_jj.numbered_sgpr, 16
	.set _Z16bitonicSortLocalPjS_PKjS1_jj.num_named_barrier, 0
	.set _Z16bitonicSortLocalPjS_PKjS1_jj.private_seg_size, 0
	.set _Z16bitonicSortLocalPjS_PKjS1_jj.uses_vcc, 1
	.set _Z16bitonicSortLocalPjS_PKjS1_jj.uses_flat_scratch, 0
	.set _Z16bitonicSortLocalPjS_PKjS1_jj.has_dyn_sized_stack, 0
	.set _Z16bitonicSortLocalPjS_PKjS1_jj.has_recursion, 0
	.set _Z16bitonicSortLocalPjS_PKjS1_jj.has_indirect_call, 0
	.section	.AMDGPU.csdata,"",@progbits
; Kernel info:
; codeLenInByte = 800
; TotalNumSgprs: 18
; NumVgprs: 13
; ScratchSize: 0
; MemoryBound: 0
; FloatMode: 240
; IeeeMode: 1
; LDSByteSize: 4096 bytes/workgroup (compile time only)
; SGPRBlocks: 0
; VGPRBlocks: 1
; NumSGPRsForWavesPerEU: 18
; NumVGPRsForWavesPerEU: 13
; Occupancy: 16
; WaveLimiterHint : 0
; COMPUTE_PGM_RSRC2:SCRATCH_EN: 0
; COMPUTE_PGM_RSRC2:USER_SGPR: 6
; COMPUTE_PGM_RSRC2:TRAP_HANDLER: 0
; COMPUTE_PGM_RSRC2:TGID_X_EN: 1
; COMPUTE_PGM_RSRC2:TGID_Y_EN: 0
; COMPUTE_PGM_RSRC2:TGID_Z_EN: 0
; COMPUTE_PGM_RSRC2:TIDIG_COMP_CNT: 0
	.text
	.protected	_Z17bitonicSortLocal1PjS_PKjS1_ ; -- Begin function _Z17bitonicSortLocal1PjS_PKjS1_
	.globl	_Z17bitonicSortLocal1PjS_PKjS1_
	.p2align	8
	.type	_Z17bitonicSortLocal1PjS_PKjS1_,@function
_Z17bitonicSortLocal1PjS_PKjS1_:        ; @_Z17bitonicSortLocal1PjS_PKjS1_
; %bb.0:
	s_clause 0x1
	s_load_dwordx4 s[0:3], s[4:5], 0x10
	s_load_dword s7, s[4:5], 0x2c
	v_mov_b32_e32 v2, 0
	v_lshl_add_u32 v1, s6, 9, v0
	v_lshlrev_b32_e32 v7, 2, v0
	v_lshlrev_b64 v[1:2], 2, v[1:2]
	v_add_nc_u32_e32 v9, v7, v7
	s_waitcnt lgkmcnt(0)
	v_add_co_u32 v3, vcc_lo, s0, v1
	v_add_co_ci_u32_e64 v4, null, s1, v2, vcc_lo
	v_add_co_u32 v5, vcc_lo, s2, v1
	v_add_co_ci_u32_e64 v6, null, s3, v2, vcc_lo
	s_clause 0x1
	global_load_dword v8, v[3:4], off
	global_load_dword v3, v[3:4], off offset:1024
	s_clause 0x1
	global_load_dword v4, v[5:6], off
	global_load_dword v5, v[5:6], off offset:1024
	s_and_b32 s0, s7, 0xffff
	s_waitcnt vmcnt(2)
	ds_write2st64_b32 v7, v8, v3 offset1:4
	s_waitcnt vmcnt(0)
	ds_write2st64_b32 v7, v4, v5 offset0:8 offset1:12
	s_waitcnt lgkmcnt(0)
	s_barrier
	buffer_gl0_inv
	ds_read_b64 v[5:6], v9
	v_mad_u64_u32 v[3:4], null, s6, s0, v[0:1]
	v_add_nc_u32_e32 v8, 0x800, v7
	v_add_nc_u32_e32 v12, v8, v7
	v_and_b32_e32 v4, 1, v3
	v_cmp_eq_u32_e32 vcc_lo, 1, v4
	s_waitcnt lgkmcnt(0)
	v_cmp_le_u32_e64 s0, v5, v6
	s_xor_b32 s1, vcc_lo, s0
	s_and_saveexec_b32 s0, s1
	s_cbranch_execz .LBB1_2
; %bb.1:
	ds_read_b64 v[10:11], v12
	v_mov_b32_e32 v4, v6
	s_waitcnt lgkmcnt(0)
	v_mov_b32_e32 v13, v11
	v_mov_b32_e32 v14, v10
	ds_write_b64 v9, v[4:5]
	ds_write_b64 v12, v[13:14]
.LBB1_2:
	s_or_b32 exec_lo, exec_lo, s0
	v_lshlrev_b32_e32 v11, 1, v0
	v_and_b32_e32 v4, 1, v0
	s_waitcnt lgkmcnt(0)
	s_barrier
	buffer_gl0_inv
	v_and_b32_e32 v10, 2, v3
	v_sub_nc_u32_e32 v4, v11, v4
	v_cmp_ne_u32_e32 vcc_lo, 0, v10
	v_lshlrev_b32_e32 v6, 2, v4
	ds_read2_b32 v[4:5], v6 offset1:2
	s_waitcnt lgkmcnt(0)
	v_cmp_le_u32_e64 s0, v4, v5
	s_xor_b32 s0, vcc_lo, s0
	s_and_saveexec_b32 s1, s0
	s_xor_b32 s0, exec_lo, s1
	s_cbranch_execz .LBB1_4
; %bb.3:
	v_add_nc_u32_e32 v10, 0x800, v6
	ds_read2_b32 v[13:14], v10 offset1:2
	ds_write2_b32 v6, v5, v4 offset1:2
	s_waitcnt lgkmcnt(1)
	ds_write2_b32 v10, v14, v13 offset1:2
.LBB1_4:
	s_or_b32 exec_lo, exec_lo, s0
	s_waitcnt lgkmcnt(0)
	s_barrier
	buffer_gl0_inv
	ds_read_b64 v[4:5], v9
	s_waitcnt lgkmcnt(0)
	v_cmp_le_u32_e64 s0, v4, v5
	s_xor_b32 s1, vcc_lo, s0
	s_and_saveexec_b32 s0, s1
	s_cbranch_execz .LBB1_6
; %bb.5:
	ds_read_b64 v[13:14], v12
	v_mov_b32_e32 v15, v5
	v_mov_b32_e32 v16, v4
	s_waitcnt lgkmcnt(0)
	v_mov_b32_e32 v4, v14
	v_mov_b32_e32 v5, v13
	ds_write_b64 v9, v[15:16]
	ds_write_b64 v12, v[4:5]
.LBB1_6:
	s_or_b32 exec_lo, exec_lo, s0
	v_and_b32_e32 v4, 3, v0
	s_waitcnt lgkmcnt(0)
	s_barrier
	buffer_gl0_inv
	v_and_b32_e32 v13, 4, v3
	v_sub_nc_u32_e32 v4, v11, v4
	v_cmp_ne_u32_e32 vcc_lo, 0, v13
	v_lshlrev_b32_e32 v10, 2, v4
	ds_read2_b32 v[4:5], v10 offset1:4
	s_waitcnt lgkmcnt(0)
	v_cmp_le_u32_e64 s0, v4, v5
	s_xor_b32 s1, vcc_lo, s0
	s_and_saveexec_b32 s0, s1
	s_cbranch_execz .LBB1_8
; %bb.7:
	v_add_nc_u32_e32 v15, 0x800, v10
	ds_read2_b32 v[13:14], v15 offset1:4
	ds_write2_b32 v10, v5, v4 offset1:4
	s_waitcnt lgkmcnt(1)
	ds_write2_b32 v15, v14, v13 offset1:4
.LBB1_8:
	s_or_b32 exec_lo, exec_lo, s0
	s_waitcnt lgkmcnt(0)
	s_barrier
	buffer_gl0_inv
	ds_read2_b32 v[4:5], v6 offset1:2
	s_waitcnt lgkmcnt(0)
	v_cmp_le_u32_e64 s0, v4, v5
	s_xor_b32 s1, vcc_lo, s0
	s_and_saveexec_b32 s0, s1
	s_cbranch_execz .LBB1_10
; %bb.9:
	v_add_nc_u32_e32 v15, 0x800, v6
	ds_read2_b32 v[13:14], v15 offset1:2
	ds_write2_b32 v6, v5, v4 offset1:2
	s_waitcnt lgkmcnt(1)
	ds_write2_b32 v15, v14, v13 offset1:2
.LBB1_10:
	s_or_b32 exec_lo, exec_lo, s0
	s_waitcnt lgkmcnt(0)
	s_barrier
	buffer_gl0_inv
	ds_read_b64 v[4:5], v9
	s_waitcnt lgkmcnt(0)
	v_cmp_le_u32_e64 s0, v4, v5
	s_xor_b32 s1, vcc_lo, s0
	s_and_saveexec_b32 s0, s1
	s_cbranch_execz .LBB1_12
; %bb.11:
	ds_read_b64 v[13:14], v12
	v_mov_b32_e32 v15, v5
	v_mov_b32_e32 v16, v4
	s_waitcnt lgkmcnt(0)
	v_mov_b32_e32 v4, v14
	v_mov_b32_e32 v5, v13
	ds_write_b64 v9, v[15:16]
	ds_write_b64 v12, v[4:5]
.LBB1_12:
	s_or_b32 exec_lo, exec_lo, s0
	v_and_b32_e32 v4, 7, v0
	s_waitcnt lgkmcnt(0)
	s_barrier
	buffer_gl0_inv
	v_and_b32_e32 v12, 8, v3
	v_sub_nc_u32_e32 v4, v11, v4
	v_cmp_ne_u32_e32 vcc_lo, 0, v12
	v_lshlrev_b32_e32 v13, 2, v4
	ds_read2_b32 v[4:5], v13 offset1:8
	s_waitcnt lgkmcnt(0)
	v_cmp_le_u32_e64 s0, v4, v5
	s_xor_b32 s1, vcc_lo, s0
	s_and_saveexec_b32 s0, s1
	s_cbranch_execz .LBB1_14
; %bb.13:
	v_add_nc_u32_e32 v12, 0x800, v13
	ds_read2_b32 v[14:15], v12 offset1:8
	ds_write2_b32 v13, v5, v4 offset1:8
	s_waitcnt lgkmcnt(1)
	ds_write2_b32 v12, v15, v14 offset1:8
.LBB1_14:
	s_or_b32 exec_lo, exec_lo, s0
	s_waitcnt lgkmcnt(0)
	s_barrier
	buffer_gl0_inv
	ds_read2_b32 v[4:5], v10 offset1:4
	s_waitcnt lgkmcnt(0)
	v_cmp_le_u32_e64 s0, v4, v5
	s_xor_b32 s1, vcc_lo, s0
	s_and_saveexec_b32 s0, s1
	s_cbranch_execz .LBB1_16
; %bb.15:
	v_add_nc_u32_e32 v12, 0x800, v10
	ds_read2_b32 v[14:15], v12 offset1:4
	ds_write2_b32 v10, v5, v4 offset1:4
	s_waitcnt lgkmcnt(1)
	ds_write2_b32 v12, v15, v14 offset1:4
.LBB1_16:
	s_or_b32 exec_lo, exec_lo, s0
	s_waitcnt lgkmcnt(0)
	s_barrier
	buffer_gl0_inv
	;; [unrolled: 17-line block ×3, first 2 shown]
	ds_read_b64 v[4:5], v9
	v_lshlrev_b32_e32 v12, 2, v11
	s_waitcnt lgkmcnt(0)
	v_cmp_le_u32_e64 s0, v4, v5
	s_xor_b32 s1, vcc_lo, s0
	s_and_saveexec_b32 s0, s1
	s_cbranch_execz .LBB1_20
; %bb.19:
	ds_read_b64 v[14:15], v12 offset:2048
	v_mov_b32_e32 v16, v5
	v_mov_b32_e32 v17, v4
	s_waitcnt lgkmcnt(0)
	v_mov_b32_e32 v4, v15
	v_mov_b32_e32 v5, v14
	ds_write_b64 v9, v[16:17]
	ds_write_b64 v12, v[4:5] offset:2048
.LBB1_20:
	s_or_b32 exec_lo, exec_lo, s0
	v_and_b32_e32 v4, 15, v0
	s_waitcnt lgkmcnt(0)
	s_barrier
	buffer_gl0_inv
	v_and_b32_e32 v15, 16, v3
	v_sub_nc_u32_e32 v4, v11, v4
	v_cmp_ne_u32_e32 vcc_lo, 0, v15
	v_lshlrev_b32_e32 v14, 2, v4
	ds_read2_b32 v[4:5], v14 offset1:16
	s_waitcnt lgkmcnt(0)
	v_cmp_le_u32_e64 s0, v4, v5
	s_xor_b32 s1, vcc_lo, s0
	s_and_saveexec_b32 s0, s1
	s_cbranch_execz .LBB1_22
; %bb.21:
	v_add_nc_u32_e32 v17, 0x800, v14
	ds_read2_b32 v[15:16], v17 offset1:16
	ds_write2_b32 v14, v5, v4 offset1:16
	s_waitcnt lgkmcnt(1)
	ds_write2_b32 v17, v16, v15 offset1:16
.LBB1_22:
	s_or_b32 exec_lo, exec_lo, s0
	s_waitcnt lgkmcnt(0)
	s_barrier
	buffer_gl0_inv
	ds_read2_b32 v[4:5], v13 offset1:8
	s_waitcnt lgkmcnt(0)
	v_cmp_le_u32_e64 s0, v4, v5
	s_xor_b32 s1, vcc_lo, s0
	s_and_saveexec_b32 s0, s1
	s_cbranch_execz .LBB1_24
; %bb.23:
	v_add_nc_u32_e32 v17, 0x800, v13
	ds_read2_b32 v[15:16], v17 offset1:8
	ds_write2_b32 v13, v5, v4 offset1:8
	s_waitcnt lgkmcnt(1)
	ds_write2_b32 v17, v16, v15 offset1:8
.LBB1_24:
	s_or_b32 exec_lo, exec_lo, s0
	s_waitcnt lgkmcnt(0)
	s_barrier
	buffer_gl0_inv
	;; [unrolled: 17-line block ×4, first 2 shown]
	ds_read_b64 v[4:5], v9
	s_waitcnt lgkmcnt(0)
	v_cmp_le_u32_e64 s0, v4, v5
	s_xor_b32 s1, vcc_lo, s0
	s_and_saveexec_b32 s0, s1
	s_cbranch_execz .LBB1_30
; %bb.29:
	ds_read_b64 v[15:16], v12 offset:2048
	v_mov_b32_e32 v17, v5
	v_mov_b32_e32 v18, v4
	s_waitcnt lgkmcnt(0)
	v_mov_b32_e32 v4, v16
	v_mov_b32_e32 v5, v15
	ds_write_b64 v9, v[17:18]
	ds_write_b64 v12, v[4:5] offset:2048
.LBB1_30:
	s_or_b32 exec_lo, exec_lo, s0
	v_and_b32_e32 v4, 31, v0
	s_waitcnt lgkmcnt(0)
	s_barrier
	buffer_gl0_inv
	v_and_b32_e32 v16, 32, v3
	v_sub_nc_u32_e32 v4, v11, v4
	v_cmp_ne_u32_e32 vcc_lo, 0, v16
	v_lshlrev_b32_e32 v15, 2, v4
	ds_read2_b32 v[4:5], v15 offset1:32
	s_waitcnt lgkmcnt(0)
	v_cmp_le_u32_e64 s0, v4, v5
	s_xor_b32 s1, vcc_lo, s0
	s_and_saveexec_b32 s0, s1
	s_cbranch_execz .LBB1_32
; %bb.31:
	v_add_nc_u32_e32 v18, 0x800, v15
	ds_read2_b32 v[16:17], v18 offset1:32
	ds_write2_b32 v15, v5, v4 offset1:32
	s_waitcnt lgkmcnt(1)
	ds_write2_b32 v18, v17, v16 offset1:32
.LBB1_32:
	s_or_b32 exec_lo, exec_lo, s0
	s_waitcnt lgkmcnt(0)
	s_barrier
	buffer_gl0_inv
	ds_read2_b32 v[4:5], v14 offset1:16
	s_waitcnt lgkmcnt(0)
	v_cmp_le_u32_e64 s0, v4, v5
	s_xor_b32 s1, vcc_lo, s0
	s_and_saveexec_b32 s0, s1
	s_cbranch_execz .LBB1_34
; %bb.33:
	v_add_nc_u32_e32 v18, 0x800, v14
	ds_read2_b32 v[16:17], v18 offset1:16
	ds_write2_b32 v14, v5, v4 offset1:16
	s_waitcnt lgkmcnt(1)
	ds_write2_b32 v18, v17, v16 offset1:16
.LBB1_34:
	s_or_b32 exec_lo, exec_lo, s0
	s_waitcnt lgkmcnt(0)
	s_barrier
	buffer_gl0_inv
	;; [unrolled: 17-line block ×5, first 2 shown]
	ds_read_b64 v[4:5], v9
	s_waitcnt lgkmcnt(0)
	v_cmp_le_u32_e64 s0, v4, v5
	s_xor_b32 s1, vcc_lo, s0
	s_and_saveexec_b32 s0, s1
	s_cbranch_execz .LBB1_42
; %bb.41:
	ds_read_b64 v[16:17], v12 offset:2048
	v_mov_b32_e32 v18, v5
	v_mov_b32_e32 v19, v4
	s_waitcnt lgkmcnt(0)
	v_mov_b32_e32 v4, v17
	v_mov_b32_e32 v5, v16
	ds_write_b64 v9, v[18:19]
	ds_write_b64 v12, v[4:5] offset:2048
.LBB1_42:
	s_or_b32 exec_lo, exec_lo, s0
	v_and_b32_e32 v4, 63, v0
	s_waitcnt lgkmcnt(0)
	s_barrier
	buffer_gl0_inv
	v_and_b32_e32 v17, 64, v3
	v_sub_nc_u32_e32 v4, v11, v4
	v_cmp_ne_u32_e32 vcc_lo, 0, v17
	v_lshlrev_b32_e32 v16, 2, v4
	ds_read2st64_b32 v[4:5], v16 offset1:1
	s_waitcnt lgkmcnt(0)
	v_cmp_le_u32_e64 s0, v4, v5
	s_xor_b32 s1, vcc_lo, s0
	s_and_saveexec_b32 s0, s1
	s_cbranch_execz .LBB1_44
; %bb.43:
	ds_read2st64_b32 v[17:18], v16 offset0:8 offset1:9
	ds_write2st64_b32 v16, v5, v4 offset1:1
	s_waitcnt lgkmcnt(1)
	ds_write2st64_b32 v16, v18, v17 offset0:8 offset1:9
.LBB1_44:
	s_or_b32 exec_lo, exec_lo, s0
	s_waitcnt lgkmcnt(0)
	s_barrier
	buffer_gl0_inv
	ds_read2_b32 v[4:5], v15 offset1:32
	s_waitcnt lgkmcnt(0)
	v_cmp_le_u32_e64 s0, v4, v5
	s_xor_b32 s1, vcc_lo, s0
	s_and_saveexec_b32 s0, s1
	s_cbranch_execz .LBB1_46
; %bb.45:
	v_add_nc_u32_e32 v19, 0x800, v15
	ds_read2_b32 v[17:18], v19 offset1:32
	ds_write2_b32 v15, v5, v4 offset1:32
	s_waitcnt lgkmcnt(1)
	ds_write2_b32 v19, v18, v17 offset1:32
.LBB1_46:
	s_or_b32 exec_lo, exec_lo, s0
	s_waitcnt lgkmcnt(0)
	s_barrier
	buffer_gl0_inv
	ds_read2_b32 v[4:5], v14 offset1:16
	s_waitcnt lgkmcnt(0)
	v_cmp_le_u32_e64 s0, v4, v5
	s_xor_b32 s1, vcc_lo, s0
	s_and_saveexec_b32 s0, s1
	s_cbranch_execz .LBB1_48
; %bb.47:
	v_add_nc_u32_e32 v19, 0x800, v14
	ds_read2_b32 v[17:18], v19 offset1:16
	ds_write2_b32 v14, v5, v4 offset1:16
	s_waitcnt lgkmcnt(1)
	ds_write2_b32 v19, v18, v17 offset1:16
.LBB1_48:
	s_or_b32 exec_lo, exec_lo, s0
	s_waitcnt lgkmcnt(0)
	s_barrier
	buffer_gl0_inv
	ds_read2_b32 v[4:5], v13 offset1:8
	s_waitcnt lgkmcnt(0)
	v_cmp_le_u32_e64 s0, v4, v5
	s_xor_b32 s1, vcc_lo, s0
	s_and_saveexec_b32 s0, s1
	s_cbranch_execz .LBB1_50
; %bb.49:
	v_add_nc_u32_e32 v19, 0x800, v13
	ds_read2_b32 v[17:18], v19 offset1:8
	ds_write2_b32 v13, v5, v4 offset1:8
	s_waitcnt lgkmcnt(1)
	ds_write2_b32 v19, v18, v17 offset1:8
.LBB1_50:
	s_or_b32 exec_lo, exec_lo, s0
	s_waitcnt lgkmcnt(0)
	s_barrier
	buffer_gl0_inv
	ds_read2_b32 v[4:5], v10 offset1:4
	s_waitcnt lgkmcnt(0)
	v_cmp_le_u32_e64 s0, v4, v5
	s_xor_b32 s1, vcc_lo, s0
	s_and_saveexec_b32 s0, s1
	s_cbranch_execz .LBB1_52
; %bb.51:
	v_add_nc_u32_e32 v19, 0x800, v10
	ds_read2_b32 v[17:18], v19 offset1:4
	ds_write2_b32 v10, v5, v4 offset1:4
	s_waitcnt lgkmcnt(1)
	ds_write2_b32 v19, v18, v17 offset1:4
.LBB1_52:
	s_or_b32 exec_lo, exec_lo, s0
	s_waitcnt lgkmcnt(0)
	s_barrier
	buffer_gl0_inv
	ds_read2_b32 v[4:5], v6 offset1:2
	s_waitcnt lgkmcnt(0)
	v_cmp_le_u32_e64 s0, v4, v5
	s_xor_b32 s1, vcc_lo, s0
	s_and_saveexec_b32 s0, s1
	s_cbranch_execz .LBB1_54
; %bb.53:
	v_add_nc_u32_e32 v19, 0x800, v6
	ds_read2_b32 v[17:18], v19 offset1:2
	ds_write2_b32 v6, v5, v4 offset1:2
	s_waitcnt lgkmcnt(1)
	ds_write2_b32 v19, v18, v17 offset1:2
.LBB1_54:
	s_or_b32 exec_lo, exec_lo, s0
	s_waitcnt lgkmcnt(0)
	s_barrier
	buffer_gl0_inv
	ds_read_b64 v[4:5], v9
	s_waitcnt lgkmcnt(0)
	v_cmp_le_u32_e64 s0, v4, v5
	s_xor_b32 s1, vcc_lo, s0
	s_and_saveexec_b32 s0, s1
	s_cbranch_execz .LBB1_56
; %bb.55:
	ds_read_b64 v[17:18], v12 offset:2048
	v_mov_b32_e32 v19, v5
	v_mov_b32_e32 v20, v4
	s_waitcnt lgkmcnt(0)
	v_mov_b32_e32 v4, v18
	v_mov_b32_e32 v5, v17
	ds_write_b64 v9, v[19:20]
	ds_write_b64 v12, v[4:5] offset:2048
.LBB1_56:
	s_or_b32 exec_lo, exec_lo, s0
	v_and_b32_e32 v4, 0x7f, v0
	s_waitcnt lgkmcnt(0)
	s_barrier
	buffer_gl0_inv
	v_and_b32_e32 v3, 0x80, v3
	v_sub_nc_u32_e32 v4, v11, v4
	v_cmp_ne_u32_e32 vcc_lo, 0, v3
	v_lshlrev_b32_e32 v17, 2, v4
	ds_read2st64_b32 v[4:5], v17 offset1:2
	s_waitcnt lgkmcnt(0)
	v_cmp_le_u32_e64 s0, v4, v5
	s_xor_b32 s1, vcc_lo, s0
	s_and_saveexec_b32 s0, s1
	s_cbranch_execz .LBB1_58
; %bb.57:
	ds_read2st64_b32 v[18:19], v17 offset0:8 offset1:10
	ds_write2st64_b32 v17, v5, v4 offset1:2
	s_waitcnt lgkmcnt(1)
	ds_write2st64_b32 v17, v19, v18 offset0:8 offset1:10
.LBB1_58:
	s_or_b32 exec_lo, exec_lo, s0
	s_waitcnt lgkmcnt(0)
	s_barrier
	buffer_gl0_inv
	ds_read2st64_b32 v[3:4], v16 offset1:1
	s_waitcnt lgkmcnt(0)
	v_cmp_le_u32_e64 s0, v3, v4
	s_xor_b32 s1, vcc_lo, s0
	s_and_saveexec_b32 s0, s1
	s_cbranch_execz .LBB1_60
; %bb.59:
	ds_read2st64_b32 v[18:19], v16 offset0:8 offset1:9
	ds_write2st64_b32 v16, v4, v3 offset1:1
	s_waitcnt lgkmcnt(1)
	ds_write2st64_b32 v16, v19, v18 offset0:8 offset1:9
.LBB1_60:
	s_or_b32 exec_lo, exec_lo, s0
	s_waitcnt lgkmcnt(0)
	s_barrier
	buffer_gl0_inv
	ds_read2_b32 v[3:4], v15 offset1:32
	s_waitcnt lgkmcnt(0)
	v_cmp_le_u32_e64 s0, v3, v4
	s_xor_b32 s1, vcc_lo, s0
	s_and_saveexec_b32 s0, s1
	s_cbranch_execz .LBB1_62
; %bb.61:
	v_add_nc_u32_e32 v5, 0x800, v15
	ds_read2_b32 v[18:19], v5 offset1:32
	ds_write2_b32 v15, v4, v3 offset1:32
	s_waitcnt lgkmcnt(1)
	ds_write2_b32 v5, v19, v18 offset1:32
.LBB1_62:
	s_or_b32 exec_lo, exec_lo, s0
	s_waitcnt lgkmcnt(0)
	s_barrier
	buffer_gl0_inv
	ds_read2_b32 v[3:4], v14 offset1:16
	s_waitcnt lgkmcnt(0)
	v_cmp_le_u32_e64 s0, v3, v4
	s_xor_b32 s1, vcc_lo, s0
	s_and_saveexec_b32 s0, s1
	s_cbranch_execz .LBB1_64
; %bb.63:
	v_add_nc_u32_e32 v5, 0x800, v14
	ds_read2_b32 v[18:19], v5 offset1:16
	ds_write2_b32 v14, v4, v3 offset1:16
	s_waitcnt lgkmcnt(1)
	ds_write2_b32 v5, v19, v18 offset1:16
.LBB1_64:
	;; [unrolled: 17-line block ×5, first 2 shown]
	s_or_b32 exec_lo, exec_lo, s0
	s_waitcnt lgkmcnt(0)
	s_barrier
	buffer_gl0_inv
	ds_read_b64 v[3:4], v9
	s_waitcnt lgkmcnt(0)
	v_cmp_le_u32_e64 s0, v3, v4
	s_xor_b32 s1, vcc_lo, s0
	s_and_saveexec_b32 s0, s1
	s_cbranch_execz .LBB1_72
; %bb.71:
	ds_read_b64 v[18:19], v12 offset:2048
	v_mov_b32_e32 v5, v3
	s_waitcnt lgkmcnt(0)
	v_mov_b32_e32 v20, v18
	ds_write_b64 v9, v[4:5]
	ds_write_b64 v12, v[19:20] offset:2048
.LBB1_72:
	s_or_b32 exec_lo, exec_lo, s0
	v_sub_nc_u32_sdwa v0, v11, v0 dst_sel:DWORD dst_unused:UNUSED_PAD src0_sel:DWORD src1_sel:BYTE_0
	s_waitcnt lgkmcnt(0)
	s_barrier
	buffer_gl0_inv
	s_bitcmp1_b32 s6, 0
	v_lshlrev_b32_e32 v0, 2, v0
	s_cselect_b32 s6, -1, 0
	ds_read2st64_b32 v[3:4], v0 offset1:4
	s_waitcnt lgkmcnt(0)
	v_cmp_le_u32_e32 vcc_lo, v3, v4
	s_xor_b32 s1, vcc_lo, s6
	s_and_saveexec_b32 s0, s1
	s_cbranch_execz .LBB1_74
; %bb.73:
	ds_read2st64_b32 v[18:19], v0 offset0:8 offset1:12
	ds_write2st64_b32 v0, v4, v3 offset1:4
	s_waitcnt lgkmcnt(1)
	ds_write2st64_b32 v0, v19, v18 offset0:8 offset1:12
.LBB1_74:
	s_or_b32 exec_lo, exec_lo, s0
	s_waitcnt lgkmcnt(0)
	s_barrier
	buffer_gl0_inv
	ds_read2st64_b32 v[3:4], v17 offset1:2
	s_waitcnt lgkmcnt(0)
	v_cmp_le_u32_e32 vcc_lo, v3, v4
	s_xor_b32 s1, vcc_lo, s6
	s_and_saveexec_b32 s0, s1
	s_cbranch_execz .LBB1_76
; %bb.75:
	ds_read2st64_b32 v[18:19], v17 offset0:8 offset1:10
	ds_write2st64_b32 v17, v4, v3 offset1:2
	s_waitcnt lgkmcnt(1)
	ds_write2st64_b32 v17, v19, v18 offset0:8 offset1:10
.LBB1_76:
	s_or_b32 exec_lo, exec_lo, s0
	s_waitcnt lgkmcnt(0)
	s_barrier
	buffer_gl0_inv
	;; [unrolled: 16-line block ×3, first 2 shown]
	ds_read2_b32 v[3:4], v15 offset1:32
	s_waitcnt lgkmcnt(0)
	v_cmp_le_u32_e32 vcc_lo, v3, v4
	s_xor_b32 s1, vcc_lo, s6
	s_and_saveexec_b32 s0, s1
	s_cbranch_execz .LBB1_80
; %bb.79:
	v_add_nc_u32_e32 v0, 0x800, v15
	ds_read2_b32 v[16:17], v0 offset1:32
	ds_write2_b32 v15, v4, v3 offset1:32
	s_waitcnt lgkmcnt(1)
	ds_write2_b32 v0, v17, v16 offset1:32
.LBB1_80:
	s_or_b32 exec_lo, exec_lo, s0
	s_waitcnt lgkmcnt(0)
	s_barrier
	buffer_gl0_inv
	ds_read2_b32 v[3:4], v14 offset1:16
	s_waitcnt lgkmcnt(0)
	v_cmp_le_u32_e32 vcc_lo, v3, v4
	s_xor_b32 s1, vcc_lo, s6
	s_and_saveexec_b32 s0, s1
	s_cbranch_execz .LBB1_82
; %bb.81:
	v_add_nc_u32_e32 v0, 0x800, v14
	ds_read2_b32 v[15:16], v0 offset1:16
	ds_write2_b32 v14, v4, v3 offset1:16
	s_waitcnt lgkmcnt(1)
	ds_write2_b32 v0, v16, v15 offset1:16
.LBB1_82:
	s_or_b32 exec_lo, exec_lo, s0
	s_waitcnt lgkmcnt(0)
	s_barrier
	buffer_gl0_inv
	;; [unrolled: 17-line block ×4, first 2 shown]
	ds_read2_b32 v[3:4], v6 offset1:2
	s_load_dwordx4 s[0:3], s[4:5], 0x0
	s_waitcnt lgkmcnt(0)
	v_cmp_le_u32_e32 vcc_lo, v3, v4
	s_xor_b32 s5, vcc_lo, s6
	s_and_saveexec_b32 s4, s5
	s_cbranch_execz .LBB1_88
; %bb.87:
	v_add_nc_u32_e32 v0, 0x800, v6
	ds_read2_b32 v[10:11], v0 offset1:2
	ds_write2_b32 v6, v4, v3 offset1:2
	s_waitcnt lgkmcnt(1)
	ds_write2_b32 v0, v11, v10 offset1:2
.LBB1_88:
	s_or_b32 exec_lo, exec_lo, s4
	s_waitcnt lgkmcnt(0)
	s_barrier
	buffer_gl0_inv
	ds_read_b64 v[3:4], v9
	s_waitcnt lgkmcnt(0)
	v_cmp_le_u32_e32 vcc_lo, v3, v4
	s_xor_b32 s5, vcc_lo, s6
	s_and_saveexec_b32 s4, s5
	s_cbranch_execz .LBB1_90
; %bb.89:
	ds_read_b64 v[5:6], v12 offset:2048
	v_mov_b32_e32 v10, v4
	v_mov_b32_e32 v11, v3
	s_waitcnt lgkmcnt(0)
	v_mov_b32_e32 v3, v6
	v_mov_b32_e32 v4, v5
	ds_write_b64 v9, v[10:11]
	ds_write_b64 v12, v[3:4] offset:2048
.LBB1_90:
	s_or_b32 exec_lo, exec_lo, s4
	s_waitcnt lgkmcnt(0)
	s_barrier
	buffer_gl0_inv
	ds_read2st64_b32 v[3:4], v7 offset1:4
	ds_read2st64_b32 v[5:6], v8 offset1:4
	v_add_co_u32 v7, vcc_lo, s0, v1
	v_add_co_ci_u32_e64 v8, null, s1, v2, vcc_lo
	v_add_co_u32 v0, vcc_lo, s2, v1
	v_add_co_ci_u32_e64 v1, null, s3, v2, vcc_lo
	s_waitcnt lgkmcnt(1)
	global_store_dword v[7:8], v3, off
	s_waitcnt lgkmcnt(0)
	global_store_dword v[0:1], v5, off
	global_store_dword v[7:8], v4, off offset:1024
	global_store_dword v[0:1], v6, off offset:1024
	s_endpgm
	.section	.rodata,"a",@progbits
	.p2align	6, 0x0
	.amdhsa_kernel _Z17bitonicSortLocal1PjS_PKjS1_
		.amdhsa_group_segment_fixed_size 4096
		.amdhsa_private_segment_fixed_size 0
		.amdhsa_kernarg_size 288
		.amdhsa_user_sgpr_count 6
		.amdhsa_user_sgpr_private_segment_buffer 1
		.amdhsa_user_sgpr_dispatch_ptr 0
		.amdhsa_user_sgpr_queue_ptr 0
		.amdhsa_user_sgpr_kernarg_segment_ptr 1
		.amdhsa_user_sgpr_dispatch_id 0
		.amdhsa_user_sgpr_flat_scratch_init 0
		.amdhsa_user_sgpr_private_segment_size 0
		.amdhsa_wavefront_size32 1
		.amdhsa_uses_dynamic_stack 0
		.amdhsa_system_sgpr_private_segment_wavefront_offset 0
		.amdhsa_system_sgpr_workgroup_id_x 1
		.amdhsa_system_sgpr_workgroup_id_y 0
		.amdhsa_system_sgpr_workgroup_id_z 0
		.amdhsa_system_sgpr_workgroup_info 0
		.amdhsa_system_vgpr_workitem_id 0
		.amdhsa_next_free_vgpr 21
		.amdhsa_next_free_sgpr 8
		.amdhsa_reserve_vcc 1
		.amdhsa_reserve_flat_scratch 0
		.amdhsa_float_round_mode_32 0
		.amdhsa_float_round_mode_16_64 0
		.amdhsa_float_denorm_mode_32 3
		.amdhsa_float_denorm_mode_16_64 3
		.amdhsa_dx10_clamp 1
		.amdhsa_ieee_mode 1
		.amdhsa_fp16_overflow 0
		.amdhsa_workgroup_processor_mode 1
		.amdhsa_memory_ordered 1
		.amdhsa_forward_progress 1
		.amdhsa_shared_vgpr_count 0
		.amdhsa_exception_fp_ieee_invalid_op 0
		.amdhsa_exception_fp_denorm_src 0
		.amdhsa_exception_fp_ieee_div_zero 0
		.amdhsa_exception_fp_ieee_overflow 0
		.amdhsa_exception_fp_ieee_underflow 0
		.amdhsa_exception_fp_ieee_inexact 0
		.amdhsa_exception_int_div_zero 0
	.end_amdhsa_kernel
	.text
.Lfunc_end1:
	.size	_Z17bitonicSortLocal1PjS_PKjS1_, .Lfunc_end1-_Z17bitonicSortLocal1PjS_PKjS1_
                                        ; -- End function
	.set _Z17bitonicSortLocal1PjS_PKjS1_.num_vgpr, 21
	.set _Z17bitonicSortLocal1PjS_PKjS1_.num_agpr, 0
	.set _Z17bitonicSortLocal1PjS_PKjS1_.numbered_sgpr, 8
	.set _Z17bitonicSortLocal1PjS_PKjS1_.num_named_barrier, 0
	.set _Z17bitonicSortLocal1PjS_PKjS1_.private_seg_size, 0
	.set _Z17bitonicSortLocal1PjS_PKjS1_.uses_vcc, 1
	.set _Z17bitonicSortLocal1PjS_PKjS1_.uses_flat_scratch, 0
	.set _Z17bitonicSortLocal1PjS_PKjS1_.has_dyn_sized_stack, 0
	.set _Z17bitonicSortLocal1PjS_PKjS1_.has_recursion, 0
	.set _Z17bitonicSortLocal1PjS_PKjS1_.has_indirect_call, 0
	.section	.AMDGPU.csdata,"",@progbits
; Kernel info:
; codeLenInByte = 4416
; TotalNumSgprs: 10
; NumVgprs: 21
; ScratchSize: 0
; MemoryBound: 0
; FloatMode: 240
; IeeeMode: 1
; LDSByteSize: 4096 bytes/workgroup (compile time only)
; SGPRBlocks: 0
; VGPRBlocks: 2
; NumSGPRsForWavesPerEU: 10
; NumVGPRsForWavesPerEU: 21
; Occupancy: 16
; WaveLimiterHint : 0
; COMPUTE_PGM_RSRC2:SCRATCH_EN: 0
; COMPUTE_PGM_RSRC2:USER_SGPR: 6
; COMPUTE_PGM_RSRC2:TRAP_HANDLER: 0
; COMPUTE_PGM_RSRC2:TGID_X_EN: 1
; COMPUTE_PGM_RSRC2:TGID_Y_EN: 0
; COMPUTE_PGM_RSRC2:TGID_Z_EN: 0
; COMPUTE_PGM_RSRC2:TIDIG_COMP_CNT: 0
	.text
	.protected	_Z18bitonicMergeGlobalPjS_PKjS1_jjjj ; -- Begin function _Z18bitonicMergeGlobalPjS_PKjS1_jjjj
	.globl	_Z18bitonicMergeGlobalPjS_PKjS1_jjjj
	.p2align	8
	.type	_Z18bitonicMergeGlobalPjS_PKjS1_jjjj,@function
_Z18bitonicMergeGlobalPjS_PKjS1_jjjj:   ; @_Z18bitonicMergeGlobalPjS_PKjS1_jjjj
; %bb.0:
	s_clause 0x1
	s_load_dword s0, s[4:5], 0x3c
	s_load_dwordx8 s[8:15], s[4:5], 0x10
	v_mov_b32_e32 v3, 0
	s_waitcnt lgkmcnt(0)
	s_and_b32 s0, s0, 0xffff
	v_mad_u64_u32 v[6:7], null, s6, s0, v[0:1]
	s_add_i32 s0, s14, -1
	v_lshlrev_b32_e32 v0, 1, v6
	v_and_b32_e32 v1, s0, v6
	s_add_i32 s0, s12, -2
	s_and_b32 s0, s13, s0
	v_sub_nc_u32_e32 v2, v0, v1
	s_lshr_b32 s0, s0, 1
	v_and_b32_e32 v6, s0, v6
	s_load_dwordx4 s[0:3], s[4:5], 0x0
	v_lshlrev_b64 v[0:1], 2, v[2:3]
	v_add_nc_u32_e32 v2, s14, v2
	v_lshlrev_b64 v[2:3], 2, v[2:3]
	v_add_co_u32 v4, vcc_lo, s8, v0
	v_add_co_ci_u32_e64 v5, null, s9, v1, vcc_lo
	v_add_co_u32 v9, vcc_lo, s8, v2
	v_add_co_ci_u32_e64 v10, null, s9, v3, vcc_lo
	v_add_co_u32 v11, vcc_lo, s10, v0
	v_add_co_ci_u32_e64 v12, null, s11, v1, vcc_lo
	s_clause 0x1
	global_load_dword v8, v[4:5], off
	global_load_dword v4, v[9:10], off
	;; [unrolled: 1-line block ×3, first 2 shown]
	v_add_co_u32 v10, vcc_lo, s10, v2
	v_add_co_ci_u32_e64 v11, null, s11, v3, vcc_lo
	v_cmp_ne_u32_e32 vcc_lo, 0, v6
	global_load_dword v5, v[10:11], off
	v_cndmask_b32_e64 v6, 0, 1, vcc_lo
	v_xor_b32_e32 v7, s15, v6
	s_waitcnt vmcnt(3)
	v_mov_b32_e32 v6, v8
	s_waitcnt vmcnt(2)
	v_cmp_gt_u32_e32 vcc_lo, v8, v4
	v_cndmask_b32_e64 v10, 0, 1, vcc_lo
	v_cmp_eq_u32_e32 vcc_lo, v7, v10
	s_waitcnt vmcnt(1)
	v_mov_b32_e32 v7, v9
	s_and_saveexec_b32 s4, vcc_lo
	s_cbranch_execz .LBB2_2
; %bb.1:
	v_mov_b32_e32 v6, v4
	s_waitcnt vmcnt(0)
	v_mov_b32_e32 v7, v5
	v_mov_b32_e32 v4, v8
	;; [unrolled: 1-line block ×3, first 2 shown]
.LBB2_2:
	s_or_b32 exec_lo, exec_lo, s4
	s_waitcnt lgkmcnt(0)
	v_add_co_u32 v8, vcc_lo, s0, v0
	v_add_co_ci_u32_e64 v9, null, s1, v1, vcc_lo
	v_add_co_u32 v0, vcc_lo, s2, v0
	v_add_co_ci_u32_e64 v1, null, s3, v1, vcc_lo
	;; [unrolled: 2-line block ×4, first 2 shown]
	global_store_dword v[8:9], v6, off
	global_store_dword v[0:1], v7, off
	;; [unrolled: 1-line block ×3, first 2 shown]
	s_waitcnt vmcnt(0)
	global_store_dword v[2:3], v5, off
	s_endpgm
	.section	.rodata,"a",@progbits
	.p2align	6, 0x0
	.amdhsa_kernel _Z18bitonicMergeGlobalPjS_PKjS1_jjjj
		.amdhsa_group_segment_fixed_size 0
		.amdhsa_private_segment_fixed_size 0
		.amdhsa_kernarg_size 304
		.amdhsa_user_sgpr_count 6
		.amdhsa_user_sgpr_private_segment_buffer 1
		.amdhsa_user_sgpr_dispatch_ptr 0
		.amdhsa_user_sgpr_queue_ptr 0
		.amdhsa_user_sgpr_kernarg_segment_ptr 1
		.amdhsa_user_sgpr_dispatch_id 0
		.amdhsa_user_sgpr_flat_scratch_init 0
		.amdhsa_user_sgpr_private_segment_size 0
		.amdhsa_wavefront_size32 1
		.amdhsa_uses_dynamic_stack 0
		.amdhsa_system_sgpr_private_segment_wavefront_offset 0
		.amdhsa_system_sgpr_workgroup_id_x 1
		.amdhsa_system_sgpr_workgroup_id_y 0
		.amdhsa_system_sgpr_workgroup_id_z 0
		.amdhsa_system_sgpr_workgroup_info 0
		.amdhsa_system_vgpr_workitem_id 0
		.amdhsa_next_free_vgpr 13
		.amdhsa_next_free_sgpr 16
		.amdhsa_reserve_vcc 1
		.amdhsa_reserve_flat_scratch 0
		.amdhsa_float_round_mode_32 0
		.amdhsa_float_round_mode_16_64 0
		.amdhsa_float_denorm_mode_32 3
		.amdhsa_float_denorm_mode_16_64 3
		.amdhsa_dx10_clamp 1
		.amdhsa_ieee_mode 1
		.amdhsa_fp16_overflow 0
		.amdhsa_workgroup_processor_mode 1
		.amdhsa_memory_ordered 1
		.amdhsa_forward_progress 1
		.amdhsa_shared_vgpr_count 0
		.amdhsa_exception_fp_ieee_invalid_op 0
		.amdhsa_exception_fp_denorm_src 0
		.amdhsa_exception_fp_ieee_div_zero 0
		.amdhsa_exception_fp_ieee_overflow 0
		.amdhsa_exception_fp_ieee_underflow 0
		.amdhsa_exception_fp_ieee_inexact 0
		.amdhsa_exception_int_div_zero 0
	.end_amdhsa_kernel
	.text
.Lfunc_end2:
	.size	_Z18bitonicMergeGlobalPjS_PKjS1_jjjj, .Lfunc_end2-_Z18bitonicMergeGlobalPjS_PKjS1_jjjj
                                        ; -- End function
	.set _Z18bitonicMergeGlobalPjS_PKjS1_jjjj.num_vgpr, 13
	.set _Z18bitonicMergeGlobalPjS_PKjS1_jjjj.num_agpr, 0
	.set _Z18bitonicMergeGlobalPjS_PKjS1_jjjj.numbered_sgpr, 16
	.set _Z18bitonicMergeGlobalPjS_PKjS1_jjjj.num_named_barrier, 0
	.set _Z18bitonicMergeGlobalPjS_PKjS1_jjjj.private_seg_size, 0
	.set _Z18bitonicMergeGlobalPjS_PKjS1_jjjj.uses_vcc, 1
	.set _Z18bitonicMergeGlobalPjS_PKjS1_jjjj.uses_flat_scratch, 0
	.set _Z18bitonicMergeGlobalPjS_PKjS1_jjjj.has_dyn_sized_stack, 0
	.set _Z18bitonicMergeGlobalPjS_PKjS1_jjjj.has_recursion, 0
	.set _Z18bitonicMergeGlobalPjS_PKjS1_jjjj.has_indirect_call, 0
	.section	.AMDGPU.csdata,"",@progbits
; Kernel info:
; codeLenInByte = 396
; TotalNumSgprs: 18
; NumVgprs: 13
; ScratchSize: 0
; MemoryBound: 0
; FloatMode: 240
; IeeeMode: 1
; LDSByteSize: 0 bytes/workgroup (compile time only)
; SGPRBlocks: 0
; VGPRBlocks: 1
; NumSGPRsForWavesPerEU: 18
; NumVGPRsForWavesPerEU: 13
; Occupancy: 16
; WaveLimiterHint : 0
; COMPUTE_PGM_RSRC2:SCRATCH_EN: 0
; COMPUTE_PGM_RSRC2:USER_SGPR: 6
; COMPUTE_PGM_RSRC2:TRAP_HANDLER: 0
; COMPUTE_PGM_RSRC2:TGID_X_EN: 1
; COMPUTE_PGM_RSRC2:TGID_Y_EN: 0
; COMPUTE_PGM_RSRC2:TGID_Z_EN: 0
; COMPUTE_PGM_RSRC2:TIDIG_COMP_CNT: 0
	.text
	.protected	_Z17bitonicMergeLocalPjS_PKjS1_jjjj ; -- Begin function _Z17bitonicMergeLocalPjS_PKjS1_jjjj
	.globl	_Z17bitonicMergeLocalPjS_PKjS1_jjjj
	.p2align	8
	.type	_Z17bitonicMergeLocalPjS_PKjS1_jjjj,@function
_Z17bitonicMergeLocalPjS_PKjS1_jjjj:    ; @_Z17bitonicMergeLocalPjS_PKjS1_jjjj
; %bb.0:
	s_load_dwordx8 s[8:15], s[4:5], 0x10
	v_mov_b32_e32 v2, 0
	v_lshl_add_u32 v1, s6, 9, v0
	s_load_dwordx4 s[0:3], s[4:5], 0x0
	v_lshlrev_b64 v[1:2], 2, v[1:2]
	s_waitcnt lgkmcnt(0)
	v_add_co_u32 v3, vcc_lo, s8, v1
	v_add_co_ci_u32_e64 v4, null, s9, v2, vcc_lo
	v_add_co_u32 v5, vcc_lo, s10, v1
	v_add_co_ci_u32_e64 v6, null, s11, v2, vcc_lo
	s_clause 0x1
	global_load_dword v7, v[3:4], off
	global_load_dword v8, v[3:4], off offset:1024
	s_clause 0x1
	global_load_dword v9, v[5:6], off
	global_load_dword v5, v[5:6], off offset:1024
	v_lshlrev_b32_e32 v4, 2, v0
	s_cmp_eq_u32 s14, 0
	s_waitcnt vmcnt(2)
	ds_write2st64_b32 v4, v7, v8 offset1:4
	s_waitcnt vmcnt(0)
	ds_write2st64_b32 v4, v9, v5 offset0:8 offset1:12
	v_add_nc_u32_e32 v3, 0x800, v4
	s_cbranch_scc1 .LBB3_5
; %bb.1:
	s_load_dword s4, s[4:5], 0x3c
	s_waitcnt lgkmcnt(0)
	s_and_b32 s4, s4, 0xffff
	v_mad_u64_u32 v[5:6], null, s6, s4, v[0:1]
	s_add_i32 s4, s12, -2
	v_lshlrev_b32_e32 v6, 1, v0
	s_and_b32 s4, s13, s4
	s_lshr_b32 s4, s4, 1
	v_and_b32_e32 v5, s4, v5
	v_cmp_ne_u32_e32 vcc_lo, 0, v5
	v_cndmask_b32_e64 v5, 0, 1, vcc_lo
	v_xor_b32_e32 v5, s15, v5
	s_inst_prefetch 0x1
	s_branch .LBB3_3
	.p2align	6
.LBB3_2:                                ;   in Loop: Header=BB3_3 Depth=1
	s_or_b32 exec_lo, exec_lo, s4
	s_lshr_b32 s4, s14, 1
	s_cmp_gt_u32 s14, 1
	s_mov_b32 s14, s4
	s_cbranch_scc0 .LBB3_5
.LBB3_3:                                ; =>This Inner Loop Header: Depth=1
	s_add_i32 s4, s14, -1
	v_and_b32_e32 v7, s4, v0
	s_barrier
	buffer_gl0_inv
	s_mov_b32 s4, exec_lo
	v_sub_nc_u32_e32 v10, v6, v7
	v_lshlrev_b32_e32 v7, 2, v10
	v_lshl_add_u32 v8, s14, 2, v7
	ds_read_b32 v9, v7
	ds_read_b32 v11, v8
	s_waitcnt lgkmcnt(0)
	v_cmp_gt_u32_e32 vcc_lo, v9, v11
	v_cndmask_b32_e64 v12, 0, 1, vcc_lo
	v_cmpx_eq_u32_e64 v5, v12
	s_cbranch_execz .LBB3_2
; %bb.4:                                ;   in Loop: Header=BB3_3 Depth=1
	v_add_lshl_u32 v10, v10, s14, 2
	ds_read_b32 v12, v10 offset:2048
	ds_read_b32 v13, v7 offset:2048
	ds_write_b32 v7, v11
	ds_write_b32 v8, v9
	s_waitcnt lgkmcnt(3)
	ds_write_b32 v7, v12 offset:2048
	s_waitcnt lgkmcnt(3)
	ds_write_b32 v10, v13 offset:2048
	s_branch .LBB3_2
.LBB3_5:
	s_inst_prefetch 0x2
	s_waitcnt lgkmcnt(0)
	s_barrier
	buffer_gl0_inv
	ds_read2st64_b32 v[4:5], v4 offset1:4
	ds_read2st64_b32 v[6:7], v3 offset1:4
	v_add_co_u32 v8, vcc_lo, s0, v1
	v_add_co_ci_u32_e64 v9, null, s1, v2, vcc_lo
	v_add_co_u32 v0, vcc_lo, s2, v1
	v_add_co_ci_u32_e64 v1, null, s3, v2, vcc_lo
	s_waitcnt lgkmcnt(1)
	global_store_dword v[8:9], v4, off
	s_waitcnt lgkmcnt(0)
	global_store_dword v[0:1], v6, off
	global_store_dword v[8:9], v5, off offset:1024
	global_store_dword v[0:1], v7, off offset:1024
	s_endpgm
	.section	.rodata,"a",@progbits
	.p2align	6, 0x0
	.amdhsa_kernel _Z17bitonicMergeLocalPjS_PKjS1_jjjj
		.amdhsa_group_segment_fixed_size 4096
		.amdhsa_private_segment_fixed_size 0
		.amdhsa_kernarg_size 304
		.amdhsa_user_sgpr_count 6
		.amdhsa_user_sgpr_private_segment_buffer 1
		.amdhsa_user_sgpr_dispatch_ptr 0
		.amdhsa_user_sgpr_queue_ptr 0
		.amdhsa_user_sgpr_kernarg_segment_ptr 1
		.amdhsa_user_sgpr_dispatch_id 0
		.amdhsa_user_sgpr_flat_scratch_init 0
		.amdhsa_user_sgpr_private_segment_size 0
		.amdhsa_wavefront_size32 1
		.amdhsa_uses_dynamic_stack 0
		.amdhsa_system_sgpr_private_segment_wavefront_offset 0
		.amdhsa_system_sgpr_workgroup_id_x 1
		.amdhsa_system_sgpr_workgroup_id_y 0
		.amdhsa_system_sgpr_workgroup_id_z 0
		.amdhsa_system_sgpr_workgroup_info 0
		.amdhsa_system_vgpr_workitem_id 0
		.amdhsa_next_free_vgpr 14
		.amdhsa_next_free_sgpr 16
		.amdhsa_reserve_vcc 1
		.amdhsa_reserve_flat_scratch 0
		.amdhsa_float_round_mode_32 0
		.amdhsa_float_round_mode_16_64 0
		.amdhsa_float_denorm_mode_32 3
		.amdhsa_float_denorm_mode_16_64 3
		.amdhsa_dx10_clamp 1
		.amdhsa_ieee_mode 1
		.amdhsa_fp16_overflow 0
		.amdhsa_workgroup_processor_mode 1
		.amdhsa_memory_ordered 1
		.amdhsa_forward_progress 1
		.amdhsa_shared_vgpr_count 0
		.amdhsa_exception_fp_ieee_invalid_op 0
		.amdhsa_exception_fp_denorm_src 0
		.amdhsa_exception_fp_ieee_div_zero 0
		.amdhsa_exception_fp_ieee_overflow 0
		.amdhsa_exception_fp_ieee_underflow 0
		.amdhsa_exception_fp_ieee_inexact 0
		.amdhsa_exception_int_div_zero 0
	.end_amdhsa_kernel
	.text
.Lfunc_end3:
	.size	_Z17bitonicMergeLocalPjS_PKjS1_jjjj, .Lfunc_end3-_Z17bitonicMergeLocalPjS_PKjS1_jjjj
                                        ; -- End function
	.set _Z17bitonicMergeLocalPjS_PKjS1_jjjj.num_vgpr, 14
	.set _Z17bitonicMergeLocalPjS_PKjS1_jjjj.num_agpr, 0
	.set _Z17bitonicMergeLocalPjS_PKjS1_jjjj.numbered_sgpr, 16
	.set _Z17bitonicMergeLocalPjS_PKjS1_jjjj.num_named_barrier, 0
	.set _Z17bitonicMergeLocalPjS_PKjS1_jjjj.private_seg_size, 0
	.set _Z17bitonicMergeLocalPjS_PKjS1_jjjj.uses_vcc, 1
	.set _Z17bitonicMergeLocalPjS_PKjS1_jjjj.uses_flat_scratch, 0
	.set _Z17bitonicMergeLocalPjS_PKjS1_jjjj.has_dyn_sized_stack, 0
	.set _Z17bitonicMergeLocalPjS_PKjS1_jjjj.has_recursion, 0
	.set _Z17bitonicMergeLocalPjS_PKjS1_jjjj.has_indirect_call, 0
	.section	.AMDGPU.csdata,"",@progbits
; Kernel info:
; codeLenInByte = 540
; TotalNumSgprs: 18
; NumVgprs: 14
; ScratchSize: 0
; MemoryBound: 0
; FloatMode: 240
; IeeeMode: 1
; LDSByteSize: 4096 bytes/workgroup (compile time only)
; SGPRBlocks: 0
; VGPRBlocks: 1
; NumSGPRsForWavesPerEU: 18
; NumVGPRsForWavesPerEU: 14
; Occupancy: 16
; WaveLimiterHint : 0
; COMPUTE_PGM_RSRC2:SCRATCH_EN: 0
; COMPUTE_PGM_RSRC2:USER_SGPR: 6
; COMPUTE_PGM_RSRC2:TRAP_HANDLER: 0
; COMPUTE_PGM_RSRC2:TGID_X_EN: 1
; COMPUTE_PGM_RSRC2:TGID_Y_EN: 0
; COMPUTE_PGM_RSRC2:TGID_Z_EN: 0
; COMPUTE_PGM_RSRC2:TIDIG_COMP_CNT: 0
	.text
	.p2alignl 6, 3214868480
	.fill 48, 4, 3214868480
	.section	.AMDGPU.gpr_maximums,"",@progbits
	.set amdgpu.max_num_vgpr, 0
	.set amdgpu.max_num_agpr, 0
	.set amdgpu.max_num_sgpr, 0
	.text
	.type	__hip_cuid_ef604c0de61f861a,@object ; @__hip_cuid_ef604c0de61f861a
	.section	.bss,"aw",@nobits
	.globl	__hip_cuid_ef604c0de61f861a
__hip_cuid_ef604c0de61f861a:
	.byte	0                               ; 0x0
	.size	__hip_cuid_ef604c0de61f861a, 1

	.ident	"AMD clang version 22.0.0git (https://github.com/RadeonOpenCompute/llvm-project roc-7.2.4 26084 f58b06dce1f9c15707c5f808fd002e18c2accf7e)"
	.section	".note.GNU-stack","",@progbits
	.addrsig
	.addrsig_sym __hip_cuid_ef604c0de61f861a
	.amdgpu_metadata
---
amdhsa.kernels:
  - .args:
      - .actual_access:  write_only
        .address_space:  global
        .offset:         0
        .size:           8
        .value_kind:     global_buffer
      - .actual_access:  write_only
        .address_space:  global
        .offset:         8
        .size:           8
        .value_kind:     global_buffer
      - .actual_access:  read_only
        .address_space:  global
        .offset:         16
        .size:           8
        .value_kind:     global_buffer
      - .actual_access:  read_only
        .address_space:  global
        .offset:         24
        .size:           8
        .value_kind:     global_buffer
      - .offset:         32
        .size:           4
        .value_kind:     by_value
      - .offset:         36
        .size:           4
        .value_kind:     by_value
    .group_segment_fixed_size: 4096
    .kernarg_segment_align: 8
    .kernarg_segment_size: 40
    .language:       OpenCL C
    .language_version:
      - 2
      - 0
    .max_flat_workgroup_size: 1024
    .name:           _Z16bitonicSortLocalPjS_PKjS1_jj
    .private_segment_fixed_size: 0
    .sgpr_count:     18
    .sgpr_spill_count: 0
    .symbol:         _Z16bitonicSortLocalPjS_PKjS1_jj.kd
    .uniform_work_group_size: 1
    .uses_dynamic_stack: false
    .vgpr_count:     13
    .vgpr_spill_count: 0
    .wavefront_size: 32
    .workgroup_processor_mode: 1
  - .args:
      - .actual_access:  write_only
        .address_space:  global
        .offset:         0
        .size:           8
        .value_kind:     global_buffer
      - .actual_access:  write_only
        .address_space:  global
        .offset:         8
        .size:           8
        .value_kind:     global_buffer
      - .actual_access:  read_only
        .address_space:  global
        .offset:         16
        .size:           8
        .value_kind:     global_buffer
      - .actual_access:  read_only
        .address_space:  global
        .offset:         24
        .size:           8
        .value_kind:     global_buffer
      - .offset:         32
        .size:           4
        .value_kind:     hidden_block_count_x
      - .offset:         36
        .size:           4
        .value_kind:     hidden_block_count_y
      - .offset:         40
        .size:           4
        .value_kind:     hidden_block_count_z
      - .offset:         44
        .size:           2
        .value_kind:     hidden_group_size_x
      - .offset:         46
        .size:           2
        .value_kind:     hidden_group_size_y
      - .offset:         48
        .size:           2
        .value_kind:     hidden_group_size_z
      - .offset:         50
        .size:           2
        .value_kind:     hidden_remainder_x
      - .offset:         52
        .size:           2
        .value_kind:     hidden_remainder_y
      - .offset:         54
        .size:           2
        .value_kind:     hidden_remainder_z
      - .offset:         72
        .size:           8
        .value_kind:     hidden_global_offset_x
      - .offset:         80
        .size:           8
        .value_kind:     hidden_global_offset_y
      - .offset:         88
        .size:           8
        .value_kind:     hidden_global_offset_z
      - .offset:         96
        .size:           2
        .value_kind:     hidden_grid_dims
    .group_segment_fixed_size: 4096
    .kernarg_segment_align: 8
    .kernarg_segment_size: 288
    .language:       OpenCL C
    .language_version:
      - 2
      - 0
    .max_flat_workgroup_size: 1024
    .name:           _Z17bitonicSortLocal1PjS_PKjS1_
    .private_segment_fixed_size: 0
    .sgpr_count:     10
    .sgpr_spill_count: 0
    .symbol:         _Z17bitonicSortLocal1PjS_PKjS1_.kd
    .uniform_work_group_size: 1
    .uses_dynamic_stack: false
    .vgpr_count:     21
    .vgpr_spill_count: 0
    .wavefront_size: 32
    .workgroup_processor_mode: 1
  - .args:
      - .actual_access:  write_only
        .address_space:  global
        .offset:         0
        .size:           8
        .value_kind:     global_buffer
      - .actual_access:  write_only
        .address_space:  global
        .offset:         8
        .size:           8
        .value_kind:     global_buffer
      - .actual_access:  read_only
        .address_space:  global
        .offset:         16
        .size:           8
        .value_kind:     global_buffer
      - .actual_access:  read_only
        .address_space:  global
        .offset:         24
        .size:           8
        .value_kind:     global_buffer
      - .offset:         32
        .size:           4
        .value_kind:     by_value
      - .offset:         36
        .size:           4
        .value_kind:     by_value
      - .offset:         40
        .size:           4
        .value_kind:     by_value
      - .offset:         44
        .size:           4
        .value_kind:     by_value
      - .offset:         48
        .size:           4
        .value_kind:     hidden_block_count_x
      - .offset:         52
        .size:           4
        .value_kind:     hidden_block_count_y
      - .offset:         56
        .size:           4
        .value_kind:     hidden_block_count_z
      - .offset:         60
        .size:           2
        .value_kind:     hidden_group_size_x
      - .offset:         62
        .size:           2
        .value_kind:     hidden_group_size_y
      - .offset:         64
        .size:           2
        .value_kind:     hidden_group_size_z
      - .offset:         66
        .size:           2
        .value_kind:     hidden_remainder_x
      - .offset:         68
        .size:           2
        .value_kind:     hidden_remainder_y
      - .offset:         70
        .size:           2
        .value_kind:     hidden_remainder_z
      - .offset:         88
        .size:           8
        .value_kind:     hidden_global_offset_x
      - .offset:         96
        .size:           8
        .value_kind:     hidden_global_offset_y
      - .offset:         104
        .size:           8
        .value_kind:     hidden_global_offset_z
      - .offset:         112
        .size:           2
        .value_kind:     hidden_grid_dims
    .group_segment_fixed_size: 0
    .kernarg_segment_align: 8
    .kernarg_segment_size: 304
    .language:       OpenCL C
    .language_version:
      - 2
      - 0
    .max_flat_workgroup_size: 1024
    .name:           _Z18bitonicMergeGlobalPjS_PKjS1_jjjj
    .private_segment_fixed_size: 0
    .sgpr_count:     18
    .sgpr_spill_count: 0
    .symbol:         _Z18bitonicMergeGlobalPjS_PKjS1_jjjj.kd
    .uniform_work_group_size: 1
    .uses_dynamic_stack: false
    .vgpr_count:     13
    .vgpr_spill_count: 0
    .wavefront_size: 32
    .workgroup_processor_mode: 1
  - .args:
      - .actual_access:  write_only
        .address_space:  global
        .offset:         0
        .size:           8
        .value_kind:     global_buffer
      - .actual_access:  write_only
        .address_space:  global
        .offset:         8
        .size:           8
        .value_kind:     global_buffer
      - .actual_access:  read_only
        .address_space:  global
        .offset:         16
        .size:           8
        .value_kind:     global_buffer
      - .actual_access:  read_only
        .address_space:  global
        .offset:         24
        .size:           8
        .value_kind:     global_buffer
      - .offset:         32
        .size:           4
        .value_kind:     by_value
      - .offset:         36
        .size:           4
        .value_kind:     by_value
      - .offset:         40
        .size:           4
        .value_kind:     by_value
      - .offset:         44
        .size:           4
        .value_kind:     by_value
      - .offset:         48
        .size:           4
        .value_kind:     hidden_block_count_x
      - .offset:         52
        .size:           4
        .value_kind:     hidden_block_count_y
      - .offset:         56
        .size:           4
        .value_kind:     hidden_block_count_z
      - .offset:         60
        .size:           2
        .value_kind:     hidden_group_size_x
      - .offset:         62
        .size:           2
        .value_kind:     hidden_group_size_y
      - .offset:         64
        .size:           2
        .value_kind:     hidden_group_size_z
      - .offset:         66
        .size:           2
        .value_kind:     hidden_remainder_x
      - .offset:         68
        .size:           2
        .value_kind:     hidden_remainder_y
      - .offset:         70
        .size:           2
        .value_kind:     hidden_remainder_z
      - .offset:         88
        .size:           8
        .value_kind:     hidden_global_offset_x
      - .offset:         96
        .size:           8
        .value_kind:     hidden_global_offset_y
      - .offset:         104
        .size:           8
        .value_kind:     hidden_global_offset_z
      - .offset:         112
        .size:           2
        .value_kind:     hidden_grid_dims
    .group_segment_fixed_size: 4096
    .kernarg_segment_align: 8
    .kernarg_segment_size: 304
    .language:       OpenCL C
    .language_version:
      - 2
      - 0
    .max_flat_workgroup_size: 1024
    .name:           _Z17bitonicMergeLocalPjS_PKjS1_jjjj
    .private_segment_fixed_size: 0
    .sgpr_count:     18
    .sgpr_spill_count: 0
    .symbol:         _Z17bitonicMergeLocalPjS_PKjS1_jjjj.kd
    .uniform_work_group_size: 1
    .uses_dynamic_stack: false
    .vgpr_count:     14
    .vgpr_spill_count: 0
    .wavefront_size: 32
    .workgroup_processor_mode: 1
amdhsa.target:   amdgcn-amd-amdhsa--gfx1030
amdhsa.version:
  - 1
  - 2
...

	.end_amdgpu_metadata
